;; amdgpu-corpus repo=ROCm/rocFFT kind=compiled arch=gfx1030 opt=O3
	.text
	.amdgcn_target "amdgcn-amd-amdhsa--gfx1030"
	.amdhsa_code_object_version 6
	.protected	fft_rtc_back_len459_factors_17_3_9_wgs_255_tpt_51_halfLds_dp_ip_CI_sbrr_dirReg ; -- Begin function fft_rtc_back_len459_factors_17_3_9_wgs_255_tpt_51_halfLds_dp_ip_CI_sbrr_dirReg
	.globl	fft_rtc_back_len459_factors_17_3_9_wgs_255_tpt_51_halfLds_dp_ip_CI_sbrr_dirReg
	.p2align	8
	.type	fft_rtc_back_len459_factors_17_3_9_wgs_255_tpt_51_halfLds_dp_ip_CI_sbrr_dirReg,@function
fft_rtc_back_len459_factors_17_3_9_wgs_255_tpt_51_halfLds_dp_ip_CI_sbrr_dirReg: ; @fft_rtc_back_len459_factors_17_3_9_wgs_255_tpt_51_halfLds_dp_ip_CI_sbrr_dirReg
; %bb.0:
	s_clause 0x1
	s_load_dwordx2 s[14:15], s[4:5], 0x18
	s_load_dwordx4 s[8:11], s[4:5], 0x0
	v_mul_u32_u24_e32 v1, 0x506, v0
	v_mov_b32_e32 v3, 0
	s_load_dwordx2 s[12:13], s[4:5], 0x50
	s_waitcnt lgkmcnt(0)
	s_load_dwordx2 s[2:3], s[14:15], 0x0
	v_lshrrev_b32_e32 v1, 16, v1
	v_cmp_lt_u64_e64 s0, s[10:11], 2
	v_mad_u64_u32 v[68:69], null, s6, 5, v[1:2]
	v_mov_b32_e32 v69, v3
	v_mov_b32_e32 v1, 0
	;; [unrolled: 1-line block ×3, first 2 shown]
	s_and_b32 vcc_lo, exec_lo, s0
	v_mov_b32_e32 v7, v68
	v_mov_b32_e32 v8, v69
	s_cbranch_vccnz .LBB0_8
; %bb.1:
	s_load_dwordx2 s[0:1], s[4:5], 0x10
	v_mov_b32_e32 v1, 0
	v_mov_b32_e32 v5, v68
	s_add_u32 s6, s14, 8
	v_mov_b32_e32 v2, 0
	v_mov_b32_e32 v6, v69
	s_addc_u32 s7, s15, 0
	s_mov_b64 s[18:19], 1
	s_waitcnt lgkmcnt(0)
	s_add_u32 s16, s0, 8
	s_addc_u32 s17, s1, 0
.LBB0_2:                                ; =>This Inner Loop Header: Depth=1
	s_load_dwordx2 s[20:21], s[16:17], 0x0
                                        ; implicit-def: $vgpr7_vgpr8
	s_mov_b32 s0, exec_lo
	s_waitcnt lgkmcnt(0)
	v_or_b32_e32 v4, s21, v6
	v_cmpx_ne_u64_e32 0, v[3:4]
	s_xor_b32 s1, exec_lo, s0
	s_cbranch_execz .LBB0_4
; %bb.3:                                ;   in Loop: Header=BB0_2 Depth=1
	v_cvt_f32_u32_e32 v4, s20
	v_cvt_f32_u32_e32 v7, s21
	s_sub_u32 s0, 0, s20
	s_subb_u32 s22, 0, s21
	v_fmac_f32_e32 v4, 0x4f800000, v7
	v_rcp_f32_e32 v4, v4
	v_mul_f32_e32 v4, 0x5f7ffffc, v4
	v_mul_f32_e32 v7, 0x2f800000, v4
	v_trunc_f32_e32 v7, v7
	v_fmac_f32_e32 v4, 0xcf800000, v7
	v_cvt_u32_f32_e32 v7, v7
	v_cvt_u32_f32_e32 v4, v4
	v_mul_lo_u32 v8, s0, v7
	v_mul_hi_u32 v9, s0, v4
	v_mul_lo_u32 v10, s22, v4
	v_add_nc_u32_e32 v8, v9, v8
	v_mul_lo_u32 v9, s0, v4
	v_add_nc_u32_e32 v8, v8, v10
	v_mul_hi_u32 v10, v4, v9
	v_mul_lo_u32 v11, v4, v8
	v_mul_hi_u32 v12, v4, v8
	v_mul_hi_u32 v13, v7, v9
	v_mul_lo_u32 v9, v7, v9
	v_mul_hi_u32 v14, v7, v8
	v_mul_lo_u32 v8, v7, v8
	v_add_co_u32 v10, vcc_lo, v10, v11
	v_add_co_ci_u32_e32 v11, vcc_lo, 0, v12, vcc_lo
	v_add_co_u32 v9, vcc_lo, v10, v9
	v_add_co_ci_u32_e32 v9, vcc_lo, v11, v13, vcc_lo
	v_add_co_ci_u32_e32 v10, vcc_lo, 0, v14, vcc_lo
	v_add_co_u32 v8, vcc_lo, v9, v8
	v_add_co_ci_u32_e32 v9, vcc_lo, 0, v10, vcc_lo
	v_add_co_u32 v4, vcc_lo, v4, v8
	v_add_co_ci_u32_e32 v7, vcc_lo, v7, v9, vcc_lo
	v_mul_hi_u32 v8, s0, v4
	v_mul_lo_u32 v10, s22, v4
	v_mul_lo_u32 v9, s0, v7
	v_add_nc_u32_e32 v8, v8, v9
	v_mul_lo_u32 v9, s0, v4
	v_add_nc_u32_e32 v8, v8, v10
	v_mul_hi_u32 v10, v4, v9
	v_mul_lo_u32 v11, v4, v8
	v_mul_hi_u32 v12, v4, v8
	v_mul_hi_u32 v13, v7, v9
	v_mul_lo_u32 v9, v7, v9
	v_mul_hi_u32 v14, v7, v8
	v_mul_lo_u32 v8, v7, v8
	v_add_co_u32 v10, vcc_lo, v10, v11
	v_add_co_ci_u32_e32 v11, vcc_lo, 0, v12, vcc_lo
	v_add_co_u32 v9, vcc_lo, v10, v9
	v_add_co_ci_u32_e32 v9, vcc_lo, v11, v13, vcc_lo
	v_add_co_ci_u32_e32 v10, vcc_lo, 0, v14, vcc_lo
	v_add_co_u32 v8, vcc_lo, v9, v8
	v_add_co_ci_u32_e32 v9, vcc_lo, 0, v10, vcc_lo
	v_add_co_u32 v4, vcc_lo, v4, v8
	v_add_co_ci_u32_e32 v11, vcc_lo, v7, v9, vcc_lo
	v_mul_hi_u32 v13, v5, v4
	v_mad_u64_u32 v[9:10], null, v6, v4, 0
	v_mad_u64_u32 v[7:8], null, v5, v11, 0
	v_mad_u64_u32 v[11:12], null, v6, v11, 0
	v_add_co_u32 v4, vcc_lo, v13, v7
	v_add_co_ci_u32_e32 v7, vcc_lo, 0, v8, vcc_lo
	v_add_co_u32 v4, vcc_lo, v4, v9
	v_add_co_ci_u32_e32 v4, vcc_lo, v7, v10, vcc_lo
	v_add_co_ci_u32_e32 v7, vcc_lo, 0, v12, vcc_lo
	v_add_co_u32 v4, vcc_lo, v4, v11
	v_add_co_ci_u32_e32 v9, vcc_lo, 0, v7, vcc_lo
	v_mul_lo_u32 v10, s21, v4
	v_mad_u64_u32 v[7:8], null, s20, v4, 0
	v_mul_lo_u32 v11, s20, v9
	v_sub_co_u32 v7, vcc_lo, v5, v7
	v_add3_u32 v8, v8, v11, v10
	v_sub_nc_u32_e32 v10, v6, v8
	v_subrev_co_ci_u32_e64 v10, s0, s21, v10, vcc_lo
	v_add_co_u32 v11, s0, v4, 2
	v_add_co_ci_u32_e64 v12, s0, 0, v9, s0
	v_sub_co_u32 v13, s0, v7, s20
	v_sub_co_ci_u32_e32 v8, vcc_lo, v6, v8, vcc_lo
	v_subrev_co_ci_u32_e64 v10, s0, 0, v10, s0
	v_cmp_le_u32_e32 vcc_lo, s20, v13
	v_cmp_eq_u32_e64 s0, s21, v8
	v_cndmask_b32_e64 v13, 0, -1, vcc_lo
	v_cmp_le_u32_e32 vcc_lo, s21, v10
	v_cndmask_b32_e64 v14, 0, -1, vcc_lo
	v_cmp_le_u32_e32 vcc_lo, s20, v7
	;; [unrolled: 2-line block ×3, first 2 shown]
	v_cndmask_b32_e64 v15, 0, -1, vcc_lo
	v_cmp_eq_u32_e32 vcc_lo, s21, v10
	v_cndmask_b32_e64 v7, v15, v7, s0
	v_cndmask_b32_e32 v10, v14, v13, vcc_lo
	v_add_co_u32 v13, vcc_lo, v4, 1
	v_add_co_ci_u32_e32 v14, vcc_lo, 0, v9, vcc_lo
	v_cmp_ne_u32_e32 vcc_lo, 0, v10
	v_cndmask_b32_e32 v8, v14, v12, vcc_lo
	v_cndmask_b32_e32 v10, v13, v11, vcc_lo
	v_cmp_ne_u32_e32 vcc_lo, 0, v7
	v_cndmask_b32_e32 v8, v9, v8, vcc_lo
	v_cndmask_b32_e32 v7, v4, v10, vcc_lo
.LBB0_4:                                ;   in Loop: Header=BB0_2 Depth=1
	s_andn2_saveexec_b32 s0, s1
	s_cbranch_execz .LBB0_6
; %bb.5:                                ;   in Loop: Header=BB0_2 Depth=1
	v_cvt_f32_u32_e32 v4, s20
	s_sub_i32 s1, 0, s20
	v_rcp_iflag_f32_e32 v4, v4
	v_mul_f32_e32 v4, 0x4f7ffffe, v4
	v_cvt_u32_f32_e32 v4, v4
	v_mul_lo_u32 v7, s1, v4
	v_mul_hi_u32 v7, v4, v7
	v_add_nc_u32_e32 v4, v4, v7
	v_mul_hi_u32 v4, v5, v4
	v_mul_lo_u32 v7, v4, s20
	v_add_nc_u32_e32 v8, 1, v4
	v_sub_nc_u32_e32 v7, v5, v7
	v_subrev_nc_u32_e32 v9, s20, v7
	v_cmp_le_u32_e32 vcc_lo, s20, v7
	v_cndmask_b32_e32 v7, v7, v9, vcc_lo
	v_cndmask_b32_e32 v4, v4, v8, vcc_lo
	v_cmp_le_u32_e32 vcc_lo, s20, v7
	v_add_nc_u32_e32 v8, 1, v4
	v_cndmask_b32_e32 v7, v4, v8, vcc_lo
	v_mov_b32_e32 v8, v3
.LBB0_6:                                ;   in Loop: Header=BB0_2 Depth=1
	s_or_b32 exec_lo, exec_lo, s0
	s_load_dwordx2 s[0:1], s[6:7], 0x0
	v_mul_lo_u32 v4, v8, s20
	v_mul_lo_u32 v11, v7, s21
	v_mad_u64_u32 v[9:10], null, v7, s20, 0
	s_add_u32 s18, s18, 1
	s_addc_u32 s19, s19, 0
	s_add_u32 s6, s6, 8
	s_addc_u32 s7, s7, 0
	s_add_u32 s16, s16, 8
	s_addc_u32 s17, s17, 0
	v_add3_u32 v4, v10, v11, v4
	v_sub_co_u32 v5, vcc_lo, v5, v9
	v_sub_co_ci_u32_e32 v4, vcc_lo, v6, v4, vcc_lo
	s_waitcnt lgkmcnt(0)
	v_mul_lo_u32 v6, s1, v5
	v_mul_lo_u32 v4, s0, v4
	v_mad_u64_u32 v[1:2], null, s0, v5, v[1:2]
	v_cmp_ge_u64_e64 s0, s[18:19], s[10:11]
	s_and_b32 vcc_lo, exec_lo, s0
	v_add3_u32 v2, v6, v2, v4
	s_cbranch_vccnz .LBB0_8
; %bb.7:                                ;   in Loop: Header=BB0_2 Depth=1
	v_mov_b32_e32 v5, v7
	v_mov_b32_e32 v6, v8
	s_branch .LBB0_2
.LBB0_8:
	s_lshl_b64 s[0:1], s[10:11], 3
	v_mul_hi_u32 v3, 0x5050506, v0
	s_add_u32 s0, s14, s0
	s_addc_u32 s1, s15, s1
	v_mov_b32_e32 v114, 0
	s_load_dwordx2 s[0:1], s[0:1], 0x0
	s_load_dwordx2 s[4:5], s[4:5], 0x20
                                        ; implicit-def: $vgpr18_vgpr19
                                        ; implicit-def: $vgpr22_vgpr23
                                        ; implicit-def: $vgpr26_vgpr27
                                        ; implicit-def: $vgpr30_vgpr31
                                        ; implicit-def: $vgpr34_vgpr35
                                        ; implicit-def: $vgpr38_vgpr39
                                        ; implicit-def: $vgpr14_vgpr15
                                        ; implicit-def: $vgpr10_vgpr11
                                        ; implicit-def: $vgpr46_vgpr47
                                        ; implicit-def: $vgpr50_vgpr51
                                        ; implicit-def: $vgpr58_vgpr59
                                        ; implicit-def: $vgpr62_vgpr63
                                        ; implicit-def: $vgpr42_vgpr43
                                        ; implicit-def: $vgpr54_vgpr55
                                        ; implicit-def: $vgpr66_vgpr67
	s_waitcnt lgkmcnt(0)
	v_mul_lo_u32 v4, s0, v8
	v_mul_lo_u32 v5, s1, v7
	v_mad_u64_u32 v[84:85], null, s0, v7, v[1:2]
	v_mul_u32_u24_e32 v1, 51, v3
	v_cmp_gt_u64_e32 vcc_lo, s[4:5], v[7:8]
                                        ; implicit-def: $vgpr6_vgpr7
                                        ; implicit-def: $vgpr2_vgpr3
	v_sub_nc_u32_e32 v115, v0, v1
	v_add3_u32 v85, v5, v85, v4
	s_and_saveexec_b32 s1, vcc_lo
	s_cbranch_execz .LBB0_12
; %bb.9:
	s_mov_b32 s4, exec_lo
                                        ; implicit-def: $vgpr0_vgpr1
                                        ; implicit-def: $vgpr64_vgpr65
                                        ; implicit-def: $vgpr52_vgpr53
                                        ; implicit-def: $vgpr40_vgpr41
                                        ; implicit-def: $vgpr60_vgpr61
                                        ; implicit-def: $vgpr56_vgpr57
                                        ; implicit-def: $vgpr48_vgpr49
                                        ; implicit-def: $vgpr44_vgpr45
                                        ; implicit-def: $vgpr8_vgpr9
                                        ; implicit-def: $vgpr12_vgpr13
                                        ; implicit-def: $vgpr36_vgpr37
                                        ; implicit-def: $vgpr32_vgpr33
                                        ; implicit-def: $vgpr28_vgpr29
                                        ; implicit-def: $vgpr24_vgpr25
                                        ; implicit-def: $vgpr20_vgpr21
                                        ; implicit-def: $vgpr16_vgpr17
                                        ; implicit-def: $vgpr4_vgpr5
	v_cmpx_gt_u32_e32 27, v115
	s_cbranch_execz .LBB0_11
; %bb.10:
	v_add_nc_u32_e32 v10, 27, v115
	v_mad_u64_u32 v[0:1], null, s2, v115, 0
	v_lshlrev_b64 v[4:5], 4, v[84:85]
	v_add_nc_u32_e32 v12, 54, v115
	v_mad_u64_u32 v[2:3], null, s2, v10, 0
	v_add_nc_u32_e32 v13, 0x51, v115
	v_add_nc_u32_e32 v14, 0x6c, v115
	v_mad_u64_u32 v[6:7], null, s2, v12, 0
	v_add_co_u32 v32, s0, s12, v4
	v_mad_u64_u32 v[8:9], null, s3, v115, v[1:2]
	v_mad_u64_u32 v[9:10], null, s3, v10, v[3:4]
	;; [unrolled: 1-line block ×3, first 2 shown]
	v_add_co_ci_u32_e64 v33, s0, s13, v5, s0
	v_mov_b32_e32 v4, v7
	v_mov_b32_e32 v1, v8
	;; [unrolled: 1-line block ×3, first 2 shown]
	v_add_nc_u32_e32 v17, 0x87, v115
	v_mov_b32_e32 v5, v11
	v_add_nc_u32_e32 v19, 0xa2, v115
	v_lshlrev_b64 v[0:1], 4, v[0:1]
	v_lshlrev_b64 v[2:3], 4, v[2:3]
	v_add_nc_u32_e32 v23, 0x10e, v115
	v_mad_u64_u32 v[7:8], null, s3, v12, v[4:5]
	v_mad_u64_u32 v[4:5], null, s3, v13, v[5:6]
	;; [unrolled: 1-line block ×3, first 2 shown]
	v_add_co_u32 v0, s0, v32, v0
	v_add_co_ci_u32_e64 v1, s0, v33, v1, s0
	v_mov_b32_e32 v11, v4
	v_add_co_u32 v4, s0, v32, v2
	v_mov_b32_e32 v2, v9
	v_lshlrev_b64 v[6:7], 4, v[6:7]
	v_lshlrev_b64 v[9:10], 4, v[10:11]
	v_mad_u64_u32 v[11:12], null, s2, v17, 0
	v_add_co_ci_u32_e64 v5, s0, v33, v3, s0
	v_mad_u64_u32 v[2:3], null, s3, v14, v[2:3]
	v_add_co_u32 v6, s0, v32, v6
	v_add_co_ci_u32_e64 v7, s0, v33, v7, s0
	v_mov_b32_e32 v3, v12
	v_add_co_u32 v13, s0, v32, v9
	v_add_co_ci_u32_e64 v14, s0, v33, v10, s0
	v_mov_b32_e32 v9, v2
	v_mad_u64_u32 v[15:16], null, s2, v19, 0
	v_mad_u64_u32 v[17:18], null, s3, v17, v[3:4]
	s_clause 0x3
	global_load_dwordx4 v[0:3], v[0:1], off
	global_load_dwordx4 v[64:67], v[4:5], off
	global_load_dwordx4 v[52:55], v[6:7], off
	global_load_dwordx4 v[40:43], v[13:14], off
	v_add_nc_u32_e32 v14, 0xbd, v115
	v_lshlrev_b64 v[4:5], 4, v[8:9]
	v_add_nc_u32_e32 v26, 0x129, v115
	v_mov_b32_e32 v6, v16
	v_add_nc_u32_e32 v30, 0x15f, v115
	v_mad_u64_u32 v[7:8], null, s2, v14, 0
	v_mov_b32_e32 v12, v17
	v_add_nc_u32_e32 v17, 0xd8, v115
	v_add_co_u32 v4, s0, v32, v4
	v_add_co_ci_u32_e64 v5, s0, v33, v5, s0
	v_mad_u64_u32 v[9:10], null, s3, v19, v[6:7]
	v_lshlrev_b64 v[10:11], 4, v[11:12]
	v_mad_u64_u32 v[12:13], null, s2, v17, 0
	v_mov_b32_e32 v6, v8
	v_add_nc_u32_e32 v31, 0x17a, v115
	v_add_nc_u32_e32 v34, 0x195, v115
	v_mov_b32_e32 v16, v9
	v_mad_u64_u32 v[8:9], null, s3, v14, v[6:7]
	v_add_co_u32 v9, s0, v32, v10
	v_mov_b32_e32 v6, v13
	v_add_co_ci_u32_e64 v10, s0, v33, v11, s0
	v_add_nc_u32_e32 v11, 0xf3, v115
	v_lshlrev_b64 v[13:14], 4, v[15:16]
	v_mad_u64_u32 v[15:16], null, s3, v17, v[6:7]
	v_lshlrev_b64 v[6:7], 4, v[7:8]
	v_mad_u64_u32 v[16:17], null, s2, v11, 0
	v_add_co_u32 v18, s0, v32, v13
	v_add_co_ci_u32_e64 v19, s0, v33, v14, s0
	v_mov_b32_e32 v13, v15
	v_mad_u64_u32 v[14:15], null, s2, v23, 0
	v_mov_b32_e32 v8, v17
	v_add_co_u32 v6, s0, v32, v6
	v_add_co_ci_u32_e64 v7, s0, v33, v7, s0
	v_mad_u64_u32 v[20:21], null, s3, v11, v[8:9]
	v_mad_u64_u32 v[21:22], null, s2, v26, 0
	v_mov_b32_e32 v8, v15
	v_lshlrev_b64 v[11:12], 4, v[12:13]
	s_clause 0x3
	global_load_dwordx4 v[60:63], v[4:5], off
	global_load_dwordx4 v[56:59], v[9:10], off
	;; [unrolled: 1-line block ×4, first 2 shown]
	v_mov_b32_e32 v17, v20
	v_add_nc_u32_e32 v20, 0x144, v115
	v_mad_u64_u32 v[23:24], null, s3, v23, v[8:9]
	v_mov_b32_e32 v8, v22
	v_lshlrev_b64 v[16:17], 4, v[16:17]
	v_mad_u64_u32 v[24:25], null, s2, v20, 0
	v_add_co_u32 v11, s0, v32, v11
	v_mad_u64_u32 v[26:27], null, s3, v26, v[8:9]
	v_mov_b32_e32 v15, v23
	v_add_co_ci_u32_e64 v12, s0, v33, v12, s0
	v_mov_b32_e32 v8, v25
	v_add_co_u32 v16, s0, v32, v16
	v_lshlrev_b64 v[13:14], 4, v[14:15]
	v_mov_b32_e32 v22, v26
	v_add_co_ci_u32_e64 v17, s0, v33, v17, s0
	v_mad_u64_u32 v[25:26], null, s3, v20, v[8:9]
	v_add_co_u32 v26, s0, v32, v13
	v_add_co_ci_u32_e64 v27, s0, v33, v14, s0
	v_lshlrev_b64 v[13:14], 4, v[21:22]
	v_mad_u64_u32 v[20:21], null, s2, v30, 0
	v_mad_u64_u32 v[22:23], null, s2, v31, 0
	v_add_co_u32 v28, s0, v32, v13
	v_add_co_ci_u32_e64 v29, s0, v33, v14, s0
	v_mov_b32_e32 v8, v21
	v_mov_b32_e32 v15, v23
	v_lshlrev_b64 v[13:14], 4, v[24:25]
	v_mad_u64_u32 v[23:24], null, s3, v30, v[8:9]
	v_mad_u64_u32 v[24:25], null, s3, v31, v[15:16]
	;; [unrolled: 1-line block ×3, first 2 shown]
	v_add_nc_u32_e32 v15, 0x1b0, v115
	v_add_co_u32 v69, s0, v32, v13
	v_add_co_ci_u32_e64 v70, s0, v33, v14, s0
	v_mad_u64_u32 v[13:14], null, s2, v15, 0
	v_mov_b32_e32 v8, v31
	v_mov_b32_e32 v21, v23
	;; [unrolled: 1-line block ×3, first 2 shown]
	v_mad_u64_u32 v[4:5], null, s3, v34, v[8:9]
	v_lshlrev_b64 v[6:7], 4, v[20:21]
	v_mov_b32_e32 v5, v14
	v_mad_u64_u32 v[8:9], null, s3, v15, v[5:6]
	v_mov_b32_e32 v31, v4
	v_lshlrev_b64 v[9:10], 4, v[22:23]
	v_add_co_u32 v4, s0, v32, v6
	v_add_co_ci_u32_e64 v5, s0, v33, v7, s0
	v_mov_b32_e32 v14, v8
	v_lshlrev_b64 v[6:7], 4, v[30:31]
	v_add_co_u32 v18, s0, v32, v9
	v_add_co_ci_u32_e64 v19, s0, v33, v10, s0
	v_lshlrev_b64 v[20:21], 4, v[13:14]
	v_add_co_u32 v6, s0, v32, v6
	v_add_co_ci_u32_e64 v7, s0, v33, v7, s0
	s_clause 0x1
	global_load_dwordx4 v[8:11], v[11:12], off
	global_load_dwordx4 v[12:15], v[16:17], off
	v_add_co_u32 v71, s0, v32, v20
	v_add_co_ci_u32_e64 v72, s0, v33, v21, s0
	s_clause 0x6
	global_load_dwordx4 v[36:39], v[26:27], off
	global_load_dwordx4 v[32:35], v[28:29], off
	;; [unrolled: 1-line block ×7, first 2 shown]
.LBB0_11:
	s_or_b32 exec_lo, exec_lo, s4
	v_mov_b32_e32 v114, v115
.LBB0_12:
	s_or_b32 exec_lo, exec_lo, s1
	v_mul_hi_u32 v69, 0xcccccccd, v68
	v_cmp_gt_u32_e64 s0, 27, v115
	v_lshrrev_b32_e32 v69, 2, v69
	v_lshl_add_u32 v69, v69, 2, v69
	v_sub_nc_u32_e32 v68, v68, v69
	v_mul_u32_u24_e32 v68, 0x1cb, v68
	v_lshlrev_b32_e32 v116, 3, v68
	s_and_saveexec_b32 s1, s0
	s_cbranch_execz .LBB0_14
; %bb.13:
	s_waitcnt vmcnt(0)
	v_add_f64 v[70:71], v[4:5], v[64:65]
	s_mov_b32 s4, 0x2b2883cd
	s_mov_b32 s5, 0x3fdc86fa
	v_add_f64 v[68:69], v[66:67], -v[6:7]
	v_add_f64 v[76:77], v[16:17], v[52:53]
	s_mov_b32 s10, 0x7c9e640b
	s_mov_b32 s22, 0x6ed5f1bb
	;; [unrolled: 1-line block ×12, first 2 shown]
	v_add_f64 v[72:73], v[54:55], -v[18:19]
	v_add_f64 v[80:81], v[20:21], v[40:41]
	v_add_f64 v[133:134], v[64:65], v[0:1]
	s_mov_b32 s6, 0x6c9a05f6
	s_mov_b32 s18, 0xeb564b22
	v_mul_f64 v[74:75], v[70:71], s[4:5]
	v_mul_f64 v[78:79], v[70:71], s[28:29]
	;; [unrolled: 1-line block ×7, first 2 shown]
	s_mov_b32 s16, 0x2a9d6da3
	s_mov_b32 s26, 0x7faef3
	;; [unrolled: 1-line block ×15, first 2 shown]
	v_fma_f64 v[117:118], v[68:69], s[10:11], v[74:75]
	s_mov_b32 s44, s40
	v_add_f64 v[86:87], v[42:43], -v[22:23]
	v_add_f64 v[88:89], v[24:25], v[60:61]
	v_mul_f64 v[92:93], v[76:77], s[20:21]
	v_fma_f64 v[119:120], v[68:69], s[16:17], v[78:79]
	v_mul_f64 v[102:103], v[76:77], s[38:39]
	v_fma_f64 v[121:122], v[68:69], s[42:43], v[94:95]
	v_mul_f64 v[100:101], v[80:81], s[26:27]
	v_mul_f64 v[104:105], v[76:77], s[26:27]
	;; [unrolled: 1-line block ×4, first 2 shown]
	v_fma_f64 v[123:124], v[72:73], s[14:15], v[90:91]
	v_fma_f64 v[125:126], v[68:69], s[18:19], v[96:97]
	;; [unrolled: 1-line block ×4, first 2 shown]
	v_add_f64 v[133:134], v[52:53], v[133:134]
	s_mov_b32 s24, 0xacd6c6b4
	s_mov_b32 s56, 0x370991
	;; [unrolled: 1-line block ×5, first 2 shown]
	v_add_f64 v[117:118], v[0:1], v[117:118]
	s_mov_b32 s49, 0x3feca52d
	s_mov_b32 s34, s24
	;; [unrolled: 1-line block ×3, first 2 shown]
	v_add_f64 v[82:83], v[62:63], -v[26:27]
	v_fma_f64 v[127:128], v[72:73], s[18:19], v[92:93]
	v_add_f64 v[119:120], v[0:1], v[119:120]
	v_mul_f64 v[135:136], v[80:81], s[28:29]
	v_fma_f64 v[137:138], v[72:73], s[40:41], v[102:103]
	v_add_f64 v[121:122], v[0:1], v[121:122]
	v_mul_f64 v[139:140], v[88:89], s[30:31]
	v_mul_f64 v[141:142], v[80:81], s[30:31]
	;; [unrolled: 1-line block ×4, first 2 shown]
	v_fma_f64 v[147:148], v[86:87], s[24:25], v[100:101]
	v_fma_f64 v[151:152], v[72:73], s[34:35], v[104:105]
	v_add_f64 v[125:126], v[0:1], v[125:126]
	v_fma_f64 v[153:154], v[72:73], s[48:49], v[112:113]
	v_add_f64 v[129:130], v[0:1], v[129:130]
	;; [unrolled: 2-line block ×3, first 2 shown]
	v_add_f64 v[157:158], v[28:29], v[56:57]
	v_add_f64 v[117:118], v[123:124], v[117:118]
	;; [unrolled: 1-line block ×3, first 2 shown]
	v_mul_f64 v[98:99], v[80:81], s[22:23]
	s_mov_b32 s50, 0x5d8e7cdc
	s_mov_b32 s47, 0x3fe58eea
	;; [unrolled: 1-line block ×4, first 2 shown]
	v_add_f64 v[119:120], v[127:128], v[119:120]
	v_mul_f64 v[127:128], v[88:89], s[4:5]
	v_fma_f64 v[159:160], v[86:87], s[46:47], v[135:136]
	v_add_f64 v[121:122], v[137:138], v[121:122]
	v_add_f64 v[137:138], v[58:59], -v[30:31]
	v_mul_f64 v[161:162], v[88:89], s[56:57]
	v_mul_f64 v[163:164], v[88:89], s[22:23]
	v_fma_f64 v[167:168], v[82:83], s[36:37], v[139:140]
	v_fma_f64 v[169:170], v[86:87], s[36:37], v[141:142]
	v_add_f64 v[125:126], v[151:152], v[125:126]
	v_fma_f64 v[151:152], v[86:87], s[18:19], v[143:144]
	v_add_f64 v[129:130], v[153:154], v[129:130]
	;; [unrolled: 2-line block ×3, first 2 shown]
	v_mul_f64 v[155:156], v[157:158], s[28:29]
	v_add_f64 v[117:118], v[147:148], v[117:118]
	v_add_f64 v[133:134], v[60:61], v[133:134]
	v_fma_f64 v[149:150], v[86:87], s[14:15], v[98:99]
	v_mul_f64 v[123:124], v[88:89], s[26:27]
	s_mov_b32 s53, 0x3fd71e95
	s_mov_b32 s52, s50
	v_mul_f64 v[177:178], v[157:158], s[4:5]
	v_mul_f64 v[179:180], v[157:158], s[56:57]
	v_fma_f64 v[173:174], v[82:83], s[10:11], v[127:128]
	v_mul_f64 v[165:166], v[88:89], s[38:39]
	v_add_f64 v[121:122], v[159:160], v[121:122]
	v_add_f64 v[159:160], v[32:33], v[48:49]
	v_fma_f64 v[181:182], v[82:83], s[52:53], v[161:162]
	v_mul_f64 v[147:148], v[70:71], s[26:27]
	v_add_f64 v[185:186], v[50:51], -v[34:35]
	v_add_f64 v[191:192], v[36:37], v[44:45]
	v_add_f64 v[125:126], v[169:170], v[125:126]
	v_fma_f64 v[169:170], v[82:83], s[6:7], v[163:164]
	v_add_f64 v[129:130], v[151:152], v[129:130]
	v_mul_f64 v[171:172], v[157:158], s[38:39]
	v_add_f64 v[131:132], v[153:154], v[131:132]
	v_fma_f64 v[153:154], v[137:138], s[46:47], v[155:156]
	v_add_f64 v[117:118], v[167:168], v[117:118]
	v_add_f64 v[133:134], v[56:57], v[133:134]
	;; [unrolled: 1-line block ×3, first 2 shown]
	v_fma_f64 v[149:150], v[82:83], s[34:35], v[123:124]
	v_mul_f64 v[167:168], v[76:77], s[56:57]
	s_mov_b32 s55, 0x3fefdd0d
	v_fma_f64 v[199:200], v[137:138], s[10:11], v[177:178]
	s_mov_b32 s54, s18
	v_add_f64 v[205:206], v[46:47], -v[38:39]
	v_fma_f64 v[151:152], v[82:83], s[44:45], v[165:166]
	v_add_f64 v[121:122], v[173:174], v[121:122]
	v_mul_f64 v[173:174], v[159:160], s[38:39]
	v_mul_f64 v[70:71], v[70:71], s[56:57]
	v_fma_f64 v[183:184], v[68:69], s[24:25], v[147:148]
	v_fma_f64 v[110:111], v[68:69], s[40:41], v[110:111]
	v_mul_f64 v[213:214], v[191:192], s[22:23]
	v_add_f64 v[125:126], v[181:182], v[125:126]
	v_fma_f64 v[181:182], v[137:138], s[50:51], v[179:180]
	v_add_f64 v[129:130], v[169:170], v[129:130]
	v_fma_f64 v[187:188], v[137:138], s[40:41], v[171:172]
	v_mul_f64 v[189:190], v[159:160], s[56:57]
	v_fma_f64 v[147:148], v[68:69], s[34:35], v[147:148]
	v_add_f64 v[117:118], v[153:154], v[117:118]
	v_mul_f64 v[153:154], v[159:160], s[26:27]
	v_add_f64 v[133:134], v[48:49], v[133:134]
	v_add_f64 v[119:120], v[149:150], v[119:120]
	v_mul_f64 v[149:150], v[157:158], s[20:21]
	v_mul_f64 v[201:202], v[80:81], s[38:39]
	v_fma_f64 v[106:107], v[68:69], s[6:7], v[106:107]
	v_mul_f64 v[76:77], v[76:77], s[28:29]
	v_fma_f64 v[94:95], v[68:69], s[36:37], v[94:95]
	v_add_f64 v[131:132], v[151:152], v[131:132]
	v_fma_f64 v[151:152], v[72:73], s[50:51], v[167:168]
	v_fma_f64 v[211:212], v[185:186], s[44:45], v[173:174]
	;; [unrolled: 1-line block ×3, first 2 shown]
	v_add_f64 v[169:170], v[0:1], v[183:184]
	v_add_f64 v[110:111], v[0:1], v[110:111]
	v_mul_f64 v[203:204], v[159:160], s[28:29]
	v_add_f64 v[125:126], v[199:200], v[125:126]
	v_fma_f64 v[167:168], v[72:73], s[52:53], v[167:168]
	v_add_f64 v[129:130], v[181:182], v[129:130]
	v_fma_f64 v[96:97], v[68:69], s[54:55], v[96:97]
	v_fma_f64 v[74:75], v[68:69], s[48:49], v[74:75]
	v_add_f64 v[147:148], v[0:1], v[147:148]
	v_fma_f64 v[78:79], v[68:69], s[46:47], v[78:79]
	v_fma_f64 v[215:216], v[185:186], s[34:35], v[153:154]
	v_add_f64 v[133:134], v[44:45], v[133:134]
	v_add_f64 v[119:120], v[187:188], v[119:120]
	v_fma_f64 v[183:184], v[137:138], s[54:55], v[149:150]
	v_fma_f64 v[187:188], v[185:186], s[50:51], v[189:190]
	;; [unrolled: 1-line block ×3, first 2 shown]
	v_add_f64 v[106:107], v[0:1], v[106:107]
	v_mul_f64 v[80:81], v[80:81], s[4:5]
	v_fma_f64 v[102:103], v[72:73], s[44:45], v[102:103]
	v_add_f64 v[94:95], v[0:1], v[94:95]
	v_fma_f64 v[104:105], v[72:73], s[24:25], v[104:105]
	v_fma_f64 v[90:91], v[72:73], s[6:7], v[90:91]
	v_add_f64 v[151:152], v[151:152], v[169:170]
	v_fma_f64 v[169:170], v[86:87], s[40:41], v[201:202]
	v_add_f64 v[110:111], v[112:113], v[110:111]
	v_add_f64 v[125:126], v[211:212], v[125:126]
	v_fma_f64 v[211:212], v[205:206], s[6:7], v[213:214]
	v_fma_f64 v[201:202], v[86:87], s[44:45], v[201:202]
	v_add_f64 v[96:97], v[0:1], v[96:97]
	v_add_f64 v[74:75], v[0:1], v[74:75]
	;; [unrolled: 1-line block ×3, first 2 shown]
	v_fma_f64 v[92:93], v[72:73], s[54:55], v[92:93]
	v_add_f64 v[129:130], v[215:216], v[129:130]
	v_fma_f64 v[215:216], v[68:69], s[50:51], v[70:71]
	v_add_f64 v[133:134], v[8:9], v[133:134]
	v_add_f64 v[131:132], v[183:184], v[131:132]
	v_mul_f64 v[183:184], v[88:89], s[28:29]
	v_fma_f64 v[68:69], v[68:69], s[52:53], v[70:71]
	v_add_f64 v[117:118], v[187:188], v[117:118]
	v_fma_f64 v[187:188], v[185:186], s[16:17], v[203:204]
	v_add_f64 v[78:79], v[0:1], v[78:79]
	v_mul_f64 v[175:176], v[157:158], s[26:27]
	v_add_f64 v[106:107], v[108:109], v[106:107]
	v_fma_f64 v[108:109], v[86:87], s[52:53], v[145:146]
	v_mul_f64 v[88:89], v[88:89], s[20:21]
	v_add_f64 v[151:152], v[169:170], v[151:152]
	v_add_f64 v[94:95], v[102:103], v[94:95]
	v_fma_f64 v[102:103], v[86:87], s[16:17], v[135:136]
	v_add_f64 v[125:126], v[211:212], v[125:126]
	v_mul_f64 v[193:194], v[159:160], s[30:31]
	v_add_f64 v[96:97], v[104:105], v[96:97]
	v_fma_f64 v[104:105], v[86:87], s[42:43], v[141:142]
	v_add_f64 v[147:148], v[201:202], v[147:148]
	v_add_f64 v[74:75], v[90:91], v[74:75]
	v_fma_f64 v[90:91], v[86:87], s[34:35], v[100:101]
	v_add_f64 v[211:212], v[0:1], v[215:216]
	v_fma_f64 v[215:216], v[72:73], s[16:17], v[76:77]
	;; [unrolled: 2-line block ×3, first 2 shown]
	v_fma_f64 v[72:73], v[72:73], s[46:47], v[76:77]
	v_add_f64 v[0:1], v[0:1], v[68:69]
	v_fma_f64 v[133:134], v[86:87], s[54:55], v[143:144]
	v_fma_f64 v[76:77], v[86:87], s[10:11], v[80:81]
	v_add_f64 v[131:132], v[187:188], v[131:132]
	v_mul_f64 v[187:188], v[157:158], s[22:23]
	v_add_f64 v[78:79], v[92:93], v[78:79]
	v_fma_f64 v[92:93], v[86:87], s[6:7], v[98:99]
	v_fma_f64 v[80:81], v[86:87], s[48:49], v[80:81]
	v_mul_f64 v[195:196], v[159:160], s[20:21]
	v_fma_f64 v[197:198], v[137:138], s[34:35], v[175:176]
	v_fma_f64 v[98:99], v[82:83], s[14:15], v[163:164]
	v_add_f64 v[106:107], v[108:109], v[106:107]
	v_fma_f64 v[108:109], v[82:83], s[40:41], v[165:166]
	v_add_f64 v[94:95], v[102:103], v[94:95]
	v_fma_f64 v[102:103], v[82:83], s[48:49], v[127:128]
	v_mul_f64 v[127:128], v[157:158], s[30:31]
	v_add_f64 v[96:97], v[104:105], v[96:97]
	v_fma_f64 v[104:105], v[82:83], s[50:51], v[161:162]
	v_add_f64 v[143:144], v[215:216], v[211:212]
	v_add_f64 v[112:113], v[36:37], v[112:113]
	;; [unrolled: 1-line block ×3, first 2 shown]
	v_fma_f64 v[169:170], v[82:83], s[46:47], v[183:184]
	v_add_f64 v[0:1], v[72:73], v[0:1]
	v_add_f64 v[100:101], v[133:134], v[110:111]
	v_fma_f64 v[110:111], v[82:83], s[18:19], v[88:89]
	v_add_f64 v[74:75], v[90:91], v[74:75]
	v_fma_f64 v[141:142], v[137:138], s[14:15], v[187:188]
	v_fma_f64 v[90:91], v[82:83], s[42:43], v[139:140]
	v_add_f64 v[78:79], v[92:93], v[78:79]
	v_fma_f64 v[92:93], v[82:83], s[24:25], v[123:124]
	;; [unrolled: 3-line block ×3, first 2 shown]
	v_mul_f64 v[209:210], v[191:192], s[4:5]
	v_fma_f64 v[199:200], v[185:186], s[54:55], v[195:196]
	v_mul_f64 v[181:182], v[191:192], s[56:57]
	v_fma_f64 v[151:152], v[137:138], s[6:7], v[187:188]
	v_add_f64 v[106:107], v[108:109], v[106:107]
	v_fma_f64 v[88:89], v[137:138], s[52:53], v[179:180]
	v_add_f64 v[94:95], v[102:103], v[94:95]
	v_add_f64 v[76:77], v[76:77], v[143:144]
	;; [unrolled: 1-line block ×3, first 2 shown]
	v_fma_f64 v[102:103], v[137:138], s[42:43], v[127:128]
	v_add_f64 v[135:136], v[169:170], v[147:148]
	v_add_f64 v[0:1], v[80:81], v[0:1]
	;; [unrolled: 1-line block ×3, first 2 shown]
	v_mul_f64 v[100:101], v[159:160], s[4:5]
	v_mul_f64 v[123:124], v[159:160], s[22:23]
	v_add_f64 v[96:97], v[104:105], v[96:97]
	v_fma_f64 v[145:146], v[137:138], s[48:49], v[177:178]
	v_add_f64 v[74:75], v[90:91], v[74:75]
	v_fma_f64 v[147:148], v[137:138], s[16:17], v[155:156]
	;; [unrolled: 2-line block ×3, first 2 shown]
	v_fma_f64 v[127:128], v[137:138], s[36:37], v[127:128]
	v_mul_f64 v[207:208], v[191:192], s[20:21]
	v_add_f64 v[68:69], v[12:13], v[8:9]
	v_add_f64 v[119:120], v[197:198], v[119:120]
	v_fma_f64 v[197:198], v[205:206], s[48:49], v[209:210]
	v_add_f64 v[121:122], v[199:200], v[121:122]
	v_fma_f64 v[199:200], v[205:206], s[50:51], v[181:182]
	v_mul_f64 v[219:220], v[191:192], s[28:29]
	v_add_f64 v[76:77], v[110:111], v[76:77]
	v_fma_f64 v[110:111], v[137:138], s[18:19], v[149:150]
	v_add_f64 v[112:113], v[28:29], v[112:113]
	v_add_f64 v[135:136], v[141:142], v[135:136]
	v_fma_f64 v[141:142], v[137:138], s[24:25], v[175:176]
	v_add_f64 v[0:1], v[82:83], v[0:1]
	v_mul_f64 v[167:168], v[191:192], s[26:27]
	v_add_f64 v[70:71], v[151:152], v[70:71]
	v_fma_f64 v[149:150], v[185:186], s[10:11], v[100:101]
	v_mul_f64 v[137:138], v[191:192], s[30:31]
	v_fma_f64 v[100:101], v[185:186], s[48:49], v[100:101]
	v_add_f64 v[88:89], v[88:89], v[98:99]
	v_fma_f64 v[151:152], v[185:186], s[24:25], v[153:154]
	v_mul_f64 v[153:154], v[191:192], s[38:39]
	v_add_f64 v[96:97], v[145:146], v[96:97]
	v_fma_f64 v[145:146], v[185:186], s[40:41], v[173:174]
	v_add_f64 v[74:75], v[147:148], v[74:75]
	v_fma_f64 v[147:148], v[185:186], s[52:53], v[189:190]
	;; [unrolled: 2-line block ×3, first 2 shown]
	v_fma_f64 v[217:218], v[205:206], s[18:19], v[207:208]
	v_add_f64 v[86:87], v[10:11], -v[14:15]
	v_add_f64 v[76:77], v[102:103], v[76:77]
	v_add_f64 v[106:107], v[110:111], v[106:107]
	v_fma_f64 v[110:111], v[185:186], s[46:47], v[203:204]
	v_fma_f64 v[102:103], v[185:186], s[14:15], v[123:124]
	v_add_f64 v[112:113], v[24:25], v[112:113]
	v_add_f64 v[94:95], v[141:142], v[94:95]
	v_fma_f64 v[141:142], v[185:186], s[18:19], v[195:196]
	v_fma_f64 v[123:124], v[185:186], s[6:7], v[123:124]
	v_add_f64 v[0:1], v[127:128], v[0:1]
	v_mul_f64 v[72:73], v[68:69], s[38:39]
	v_mul_f64 v[133:134], v[68:69], s[56:57]
	;; [unrolled: 1-line block ×4, first 2 shown]
	v_add_f64 v[119:120], v[197:198], v[119:120]
	v_add_f64 v[121:122], v[199:200], v[121:122]
	v_fma_f64 v[197:198], v[205:206], s[46:47], v[219:220]
	v_fma_f64 v[199:200], v[205:206], s[34:35], v[167:168]
	v_mul_f64 v[82:83], v[68:69], s[30:31]
	v_mul_f64 v[98:99], v[68:69], s[4:5]
	v_add_f64 v[70:71], v[149:150], v[70:71]
	v_fma_f64 v[149:150], v[205:206], s[36:37], v[137:138]
	v_mul_f64 v[127:128], v[68:69], s[20:21]
	v_add_f64 v[100:101], v[100:101], v[135:136]
	v_fma_f64 v[135:136], v[205:206], s[42:43], v[137:138]
	v_add_f64 v[88:89], v[151:152], v[88:89]
	v_fma_f64 v[137:138], v[205:206], s[16:17], v[219:220]
	v_add_f64 v[106:107], v[110:111], v[106:107]
	v_fma_f64 v[110:111], v[205:206], s[24:25], v[167:168]
	v_add_f64 v[76:77], v[102:103], v[76:77]
	v_fma_f64 v[102:103], v[205:206], s[44:45], v[153:154]
	v_mul_f64 v[68:69], v[68:69], s[26:27]
	v_add_f64 v[112:113], v[20:21], v[112:113]
	v_add_f64 v[94:95], v[141:142], v[94:95]
	v_fma_f64 v[141:142], v[205:206], s[52:53], v[181:182]
	v_add_f64 v[96:97], v[145:146], v[96:97]
	v_fma_f64 v[145:146], v[205:206], s[14:15], v[213:214]
	;; [unrolled: 2-line block ×4, first 2 shown]
	v_fma_f64 v[153:154], v[205:206], s[40:41], v[153:154]
	v_add_f64 v[0:1], v[123:124], v[0:1]
	v_add_f64 v[117:118], v[217:218], v[117:118]
	v_fma_f64 v[80:81], v[86:87], s[44:45], v[72:73]
	v_fma_f64 v[108:109], v[86:87], s[52:53], v[133:134]
	;; [unrolled: 1-line block ×4, first 2 shown]
	v_add_f64 v[129:130], v[197:198], v[129:130]
	v_add_f64 v[131:132], v[199:200], v[131:132]
	v_fma_f64 v[151:152], v[86:87], s[42:43], v[82:83]
	v_fma_f64 v[123:124], v[86:87], s[48:49], v[98:99]
	v_add_f64 v[70:71], v[149:150], v[70:71]
	v_fma_f64 v[149:150], v[86:87], s[18:19], v[127:128]
	v_add_f64 v[100:101], v[135:136], v[100:101]
	;; [unrolled: 2-line block ×6, first 2 shown]
	v_add_f64 v[94:95], v[141:142], v[94:95]
	v_fma_f64 v[112:113], v[86:87], s[6:7], v[143:144]
	v_add_f64 v[96:97], v[145:146], v[96:97]
	v_fma_f64 v[135:136], v[86:87], s[16:17], v[139:140]
	;; [unrolled: 2-line block ×4, first 2 shown]
	v_fma_f64 v[68:69], v[86:87], s[24:25], v[68:69]
	v_add_f64 v[0:1], v[153:154], v[0:1]
	v_add_f64 v[80:81], v[80:81], v[117:118]
	;; [unrolled: 1-line block ×18, first 2 shown]
	v_mul_u32_u24_e32 v68, 0x88, v115
	v_add3_u32 v68, 0, v68, v116
	ds_write2_b64 v68, v[86:87], v[80:81] offset0:2 offset1:3
	ds_write2_b64 v68, v[90:91], v[104:105] offset0:4 offset1:5
	ds_write2_b64 v68, v[117:118], v[108:109] offset0:6 offset1:7
	ds_write2_b64 v68, v[100:101], v[70:71] offset0:8 offset1:9
	ds_write2_b64 v68, v[82:83], v[88:89] offset0:10 offset1:11
	ds_write2_b64 v68, v[98:99], v[76:77] offset1:1
	ds_write2_b64 v68, v[94:95], v[96:97] offset0:12 offset1:13
	ds_write2_b64 v68, v[72:73], v[74:75] offset0:14 offset1:15
	ds_write_b64 v68, v[0:1] offset:128
.LBB0_14:
	s_or_b32 exec_lo, exec_lo, s1
	v_lshlrev_b32_e32 v86, 3, v115
	s_waitcnt vmcnt(0) lgkmcnt(0)
	s_barrier
	buffer_gl0_inv
	v_add_nc_u32_e32 v91, 0, v86
	v_add3_u32 v88, 0, v116, v86
	v_add_nc_u32_e32 v89, v91, v116
	v_add_nc_u32_e32 v87, 0x400, v89
	;; [unrolled: 1-line block ×3, first 2 shown]
	ds_read_b64 v[0:1], v88
	ds_read2_b64 v[72:75], v89 offset0:153 offset1:204
	ds_read2_b64 v[68:71], v89 offset0:51 offset1:102
	;; [unrolled: 1-line block ×4, first 2 shown]
	s_waitcnt lgkmcnt(0)
	s_barrier
	buffer_gl0_inv
	s_and_saveexec_b32 s33, s0
	s_cbranch_execz .LBB0_16
; %bb.15:
	v_add_f64 v[92:93], v[66:67], v[2:3]
	v_add_f64 v[4:5], v[64:65], -v[4:5]
	v_add_f64 v[20:21], v[40:41], -v[20:21]
	s_mov_b32 s26, 0x5d8e7cdc
	s_mov_b32 s44, 0x2a9d6da3
	;; [unrolled: 1-line block ×15, first 2 shown]
	v_add_f64 v[66:67], v[6:7], v[66:67]
	s_mov_b32 s35, 0xbfc7851a
	v_add_f64 v[16:17], v[52:53], -v[16:17]
	v_add_f64 v[52:53], v[22:23], v[42:43]
	v_add_f64 v[64:65], v[54:55], v[92:93]
	v_add_f64 v[36:37], v[44:45], -v[36:37]
	v_mul_f64 v[44:45], v[4:5], s[26:27]
	v_mul_f64 v[92:93], v[4:5], s[30:31]
	;; [unrolled: 1-line block ×5, first 2 shown]
	s_mov_b32 s0, 0x370991
	s_mov_b32 s4, 0x75d4884
	;; [unrolled: 1-line block ×15, first 2 shown]
	v_add_f64 v[40:41], v[42:43], v[64:65]
	v_add_f64 v[42:43], v[26:27], v[62:63]
	v_mul_f64 v[64:65], v[4:5], s[46:47]
	s_mov_b32 s19, 0xbfeb34fa
	s_mov_b32 s22, 0x7faef3
	;; [unrolled: 1-line block ×7, first 2 shown]
	v_add_f64 v[54:55], v[18:19], v[54:55]
	s_mov_b32 s39, 0x3fd71e95
	v_add_f64 v[24:25], v[60:61], -v[24:25]
	v_add_f64 v[28:29], v[56:57], -v[28:29]
	s_mov_b32 s38, s26
	v_mul_f64 v[100:101], v[16:17], s[44:45]
	v_mul_f64 v[102:103], v[16:17], s[30:31]
	;; [unrolled: 1-line block ×5, first 2 shown]
	v_fma_f64 v[173:174], v[66:67], s[0:1], -v[44:45]
	v_fma_f64 v[44:45], v[66:67], s[0:1], v[44:45]
	v_add_f64 v[40:41], v[62:63], v[40:41]
	v_mul_f64 v[62:63], v[4:5], s[44:45]
	v_mul_f64 v[4:5], v[4:5], s[34:35]
	v_fma_f64 v[177:178], v[66:67], s[6:7], -v[64:65]
	v_fma_f64 v[64:65], v[66:67], s[6:7], v[64:65]
	v_fma_f64 v[179:180], v[66:67], s[10:11], -v[92:93]
	v_fma_f64 v[92:93], v[66:67], s[10:11], v[92:93]
	v_fma_f64 v[181:182], v[66:67], s[14:15], -v[94:95]
	v_mul_f64 v[110:111], v[16:17], s[52:53]
	v_mul_f64 v[112:113], v[16:17], s[36:37]
	v_fma_f64 v[183:184], v[66:67], s[16:17], -v[96:97]
	v_fma_f64 v[96:97], v[66:67], s[16:17], v[96:97]
	v_fma_f64 v[185:186], v[66:67], s[18:19], -v[98:99]
	v_add_f64 v[32:33], v[48:49], -v[32:33]
	v_add_f64 v[48:49], v[38:39], v[46:47]
	v_mul_f64 v[16:17], v[16:17], s[38:39]
	v_fma_f64 v[98:99], v[66:67], s[18:19], v[98:99]
	v_fma_f64 v[94:95], v[66:67], s[14:15], v[94:95]
	s_mov_b32 s55, 0x3fc7851a
	s_mov_b32 s41, 0x3fe58eea
	s_mov_b32 s49, 0x3fe9895b
	s_mov_b32 s43, 0x3fefdd0d
	v_add_f64 v[40:41], v[58:59], v[40:41]
	v_fma_f64 v[175:176], v[66:67], s[4:5], -v[62:63]
	v_fma_f64 v[62:63], v[66:67], s[4:5], v[62:63]
	s_mov_b32 s54, s34
	s_mov_b32 s40, s44
	;; [unrolled: 1-line block ×4, first 2 shown]
	v_add_f64 v[60:61], v[30:31], v[58:59]
	v_mul_f64 v[117:118], v[20:21], s[46:47]
	v_mul_f64 v[119:120], v[20:21], s[24:25]
	;; [unrolled: 1-line block ×14, first 2 shown]
	v_add_f64 v[40:41], v[50:51], v[40:41]
	v_mul_f64 v[141:142], v[24:25], s[48:49]
	v_mul_f64 v[24:25], v[24:25], s[40:41]
	;; [unrolled: 1-line block ×10, first 2 shown]
	v_fma_f64 v[187:188], v[54:55], s[10:11], -v[102:103]
	v_fma_f64 v[102:103], v[54:55], s[10:11], v[102:103]
	v_fma_f64 v[189:190], v[54:55], s[16:17], -v[104:105]
	v_fma_f64 v[104:105], v[54:55], s[16:17], v[104:105]
	;; [unrolled: 2-line block ×3, first 2 shown]
	v_fma_f64 v[193:194], v[54:55], s[18:19], -v[108:109]
	v_add_f64 v[173:174], v[2:3], v[173:174]
	v_add_f64 v[44:45], v[2:3], v[44:45]
	;; [unrolled: 1-line block ×5, first 2 shown]
	v_fma_f64 v[46:47], v[66:67], s[22:23], -v[4:5]
	v_fma_f64 v[4:5], v[66:67], s[22:23], v[4:5]
	v_fma_f64 v[66:67], v[54:55], s[4:5], -v[100:101]
	v_fma_f64 v[100:101], v[54:55], s[4:5], v[100:101]
	v_add_f64 v[177:178], v[2:3], v[177:178]
	v_add_f64 v[64:65], v[2:3], v[64:65]
	;; [unrolled: 1-line block ×5, first 2 shown]
	v_fma_f64 v[195:196], v[54:55], s[14:15], -v[110:111]
	v_fma_f64 v[110:111], v[54:55], s[14:15], v[110:111]
	v_fma_f64 v[197:198], v[54:55], s[6:7], -v[112:113]
	v_add_f64 v[96:97], v[2:3], v[96:97]
	v_add_f64 v[185:186], v[2:3], v[185:186]
	v_fma_f64 v[112:113], v[54:55], s[6:7], v[112:113]
	v_fma_f64 v[199:200], v[54:55], s[0:1], -v[16:17]
	v_add_f64 v[98:99], v[2:3], v[98:99]
	v_add_f64 v[56:57], v[34:35], v[50:51]
	v_fma_f64 v[16:17], v[54:55], s[0:1], v[16:17]
	v_add_f64 v[94:95], v[2:3], v[94:95]
	v_add_f64 v[183:184], v[2:3], v[183:184]
	;; [unrolled: 1-line block ×5, first 2 shown]
	v_fma_f64 v[108:109], v[54:55], s[18:19], v[108:109]
	v_fma_f64 v[54:55], v[52:53], s[6:7], -v[117:118]
	v_fma_f64 v[117:118], v[52:53], s[6:7], v[117:118]
	v_fma_f64 v[201:202], v[52:53], s[16:17], -v[119:120]
	;; [unrolled: 2-line block ×9, first 2 shown]
	v_fma_f64 v[129:130], v[42:43], s[10:11], v[129:130]
	v_add_f64 v[40:41], v[14:15], v[40:41]
	v_fma_f64 v[215:216], v[42:43], s[22:23], -v[131:132]
	v_fma_f64 v[131:132], v[42:43], s[22:23], v[131:132]
	v_fma_f64 v[217:218], v[42:43], s[14:15], -v[133:134]
	v_fma_f64 v[133:134], v[42:43], s[14:15], v[133:134]
	;; [unrolled: 2-line block ×10, first 2 shown]
	v_fma_f64 v[233:234], v[60:61], s[6:7], -v[149:150]
	v_add_f64 v[38:39], v[38:39], v[40:41]
	v_fma_f64 v[149:150], v[60:61], s[6:7], v[149:150]
	v_fma_f64 v[40:41], v[60:61], s[22:23], -v[151:152]
	v_fma_f64 v[151:152], v[60:61], s[22:23], v[151:152]
	v_fma_f64 v[235:236], v[60:61], s[10:11], -v[153:154]
	;; [unrolled: 2-line block ×3, first 2 shown]
	v_add_f64 v[4:5], v[66:67], v[173:174]
	v_add_f64 v[44:45], v[100:101], v[44:45]
	;; [unrolled: 1-line block ×5, first 2 shown]
	v_fma_f64 v[102:103], v[60:61], s[16:17], -v[28:29]
	v_add_f64 v[64:65], v[104:105], v[64:65]
	v_fma_f64 v[28:29], v[60:61], s[16:17], v[28:29]
	v_add_f64 v[92:93], v[106:107], v[92:93]
	v_add_f64 v[96:97], v[110:111], v[96:97]
	;; [unrolled: 1-line block ×8, first 2 shown]
	v_fma_f64 v[38:39], v[60:61], s[0:1], v[155:156]
	v_add_f64 v[60:61], v[191:192], v[179:180]
	v_add_f64 v[155:156], v[193:194], v[181:182]
	;; [unrolled: 1-line block ×3, first 2 shown]
	v_mul_f64 v[157:158], v[32:33], s[24:25]
	v_mul_f64 v[159:160], v[32:33], s[52:53]
	v_add_f64 v[4:5], v[54:55], v[4:5]
	v_add_f64 v[16:17], v[117:118], v[44:45]
	;; [unrolled: 1-line block ×5, first 2 shown]
	v_mul_f64 v[161:162], v[32:33], s[26:27]
	v_add_f64 v[64:65], v[121:122], v[64:65]
	v_mul_f64 v[50:51], v[32:33], s[28:29]
	v_add_f64 v[92:93], v[123:124], v[92:93]
	;; [unrolled: 2-line block ×3, first 2 shown]
	v_add_f64 v[58:59], v[58:59], v[98:99]
	v_add_f64 v[46:47], v[213:214], v[46:47]
	v_add_f64 v[2:3], v[20:21], v[2:3]
	v_mul_f64 v[165:166], v[32:33], s[44:45]
	v_add_f64 v[30:31], v[30:31], v[34:35]
	v_mul_f64 v[167:168], v[32:33], s[34:35]
	v_add_f64 v[60:61], v[205:206], v[60:61]
	v_add_f64 v[119:120], v[207:208], v[155:156]
	v_mul_f64 v[32:33], v[32:33], s[36:37]
	v_add_f64 v[96:97], v[127:128], v[96:97]
	v_add_f64 v[94:95], v[125:126], v[94:95]
	v_add_f64 v[4:5], v[52:53], v[4:5]
	v_add_f64 v[16:17], v[129:130], v[16:17]
	v_add_f64 v[20:21], v[215:216], v[44:45]
	v_add_f64 v[44:45], v[131:132], v[54:55]
	v_add_f64 v[52:53], v[217:218], v[62:63]
	v_add_f64 v[108:109], v[209:210], v[108:109]
	v_add_f64 v[54:55], v[133:134], v[64:65]
	v_fma_f64 v[104:105], v[56:57], s[16:17], -v[157:158]
	v_add_f64 v[92:93], v[135:136], v[92:93]
	v_fma_f64 v[106:107], v[56:57], s[16:17], v[157:158]
	v_add_f64 v[110:111], v[225:226], v[110:111]
	v_add_f64 v[58:59], v[141:142], v[58:59]
	;; [unrolled: 1-line block ×4, first 2 shown]
	v_fma_f64 v[34:35], v[56:57], s[14:15], -v[159:160]
	v_add_f64 v[26:27], v[26:27], v[30:31]
	v_fma_f64 v[66:67], v[56:57], s[14:15], v[159:160]
	v_add_f64 v[60:61], v[219:220], v[60:61]
	v_add_f64 v[119:120], v[221:222], v[119:120]
	v_fma_f64 v[100:101], v[56:57], s[0:1], -v[161:162]
	v_fma_f64 v[112:113], v[56:57], s[0:1], v[161:162]
	v_fma_f64 v[117:118], v[56:57], s[18:19], -v[50:51]
	v_fma_f64 v[30:31], v[56:57], s[18:19], v[50:51]
	;; [unrolled: 2-line block ×4, first 2 shown]
	v_add_f64 v[96:97], v[139:140], v[96:97]
	v_add_f64 v[4:5], v[42:43], v[4:5]
	v_add_f64 v[24:25], v[145:146], v[44:45]
	v_add_f64 v[42:43], v[231:232], v[52:53]
	v_fma_f64 v[44:45], v[56:57], s[22:23], v[167:168]
	v_add_f64 v[52:53], v[147:148], v[54:55]
	v_fma_f64 v[54:55], v[56:57], s[6:7], -v[32:33]
	v_fma_f64 v[32:33], v[56:57], s[6:7], v[32:33]
	v_mul_f64 v[169:170], v[36:37], s[28:29]
	v_mul_f64 v[171:172], v[36:37], s[36:37]
	v_add_f64 v[22:23], v[22:23], v[26:27]
	v_fma_f64 v[26:27], v[56:57], s[22:23], -v[167:168]
	v_add_f64 v[60:61], v[233:234], v[60:61]
	v_add_f64 v[56:57], v[149:150], v[92:93]
	;; [unrolled: 1-line block ×12, first 2 shown]
	v_add_f64 v[8:9], v[8:9], -v[12:13]
	v_add_f64 v[28:29], v[100:101], v[42:43]
	v_add_f64 v[4:5], v[104:105], v[4:5]
	v_add_f64 v[42:43], v[112:113], v[52:53]
	v_mul_f64 v[52:53], v[36:37], s[48:49]
	v_add_f64 v[24:25], v[66:67], v[24:25]
	v_fma_f64 v[92:93], v[48:49], s[18:19], -v[169:170]
	v_add_f64 v[10:11], v[14:15], v[10:11]
	v_add_f64 v[18:19], v[18:19], v[22:23]
	v_mul_f64 v[22:23], v[36:37], s[30:31]
	v_add_f64 v[58:59], v[117:118], v[60:61]
	v_mul_f64 v[60:61], v[36:37], s[26:27]
	;; [unrolled: 2-line block ×4, first 2 shown]
	v_mul_f64 v[36:37], v[36:37], s[20:21]
	v_add_f64 v[94:95], v[151:152], v[94:95]
	v_add_f64 v[16:17], v[106:107], v[16:17]
	;; [unrolled: 1-line block ×3, first 2 shown]
	v_fma_f64 v[34:35], v[48:49], s[18:19], v[169:170]
	v_add_f64 v[12:13], v[26:27], v[110:111]
	v_fma_f64 v[26:27], v[48:49], s[6:7], -v[171:172]
	v_add_f64 v[38:39], v[44:45], v[38:39]
	v_add_f64 v[44:45], v[54:55], v[46:47]
	v_fma_f64 v[46:47], v[48:49], s[6:7], v[171:172]
	v_add_f64 v[108:109], v[235:236], v[108:109]
	v_add_f64 v[2:3], v[32:33], v[2:3]
	;; [unrolled: 1-line block ×3, first 2 shown]
	v_mul_f64 v[14:15], v[8:9], s[34:35]
	v_add_f64 v[4:5], v[92:93], v[4:5]
	v_fma_f64 v[32:33], v[48:49], s[10:11], -v[22:23]
	v_fma_f64 v[22:23], v[48:49], s[10:11], v[22:23]
	v_fma_f64 v[54:55], v[48:49], s[0:1], -v[60:61]
	v_fma_f64 v[60:61], v[48:49], s[0:1], v[60:61]
	;; [unrolled: 2-line block ×3, first 2 shown]
	v_mul_f64 v[98:99], v[8:9], s[40:41]
	v_fma_f64 v[96:97], v[48:49], s[14:15], -v[36:37]
	v_fma_f64 v[36:37], v[48:49], s[14:15], v[36:37]
	v_add_f64 v[62:63], v[62:63], v[94:95]
	v_fma_f64 v[94:95], v[48:49], s[4:5], -v[50:51]
	v_add_f64 v[16:17], v[34:35], v[16:17]
	v_fma_f64 v[34:35], v[48:49], s[16:17], -v[52:53]
	v_fma_f64 v[52:53], v[48:49], s[16:17], v[52:53]
	v_fma_f64 v[50:51], v[48:49], s[4:5], v[50:51]
	v_mul_f64 v[48:49], v[8:9], s[38:39]
	v_add_f64 v[20:21], v[26:27], v[20:21]
	v_mul_f64 v[26:27], v[8:9], s[28:29]
	v_add_f64 v[24:25], v[46:47], v[24:25]
	;; [unrolled: 2-line block ×4, first 2 shown]
	v_mul_f64 v[32:33], v[8:9], s[20:21]
	v_mul_f64 v[8:9], v[8:9], s[42:43]
	v_add_f64 v[40:41], v[54:55], v[40:41]
	v_add_f64 v[22:23], v[22:23], v[42:43]
	;; [unrolled: 1-line block ×6, first 2 shown]
	v_fma_f64 v[36:37], v[10:11], s[22:23], -v[14:15]
	v_add_f64 v[42:43], v[60:61], v[62:63]
	v_fma_f64 v[60:61], v[10:11], s[4:5], v[98:99]
	v_add_f64 v[34:35], v[34:35], v[58:59]
	v_add_f64 v[30:31], v[52:53], v[30:31]
	;; [unrolled: 1-line block ×3, first 2 shown]
	v_fma_f64 v[50:51], v[10:11], s[0:1], -v[48:49]
	v_fma_f64 v[48:49], v[10:11], s[0:1], v[48:49]
	v_fma_f64 v[56:57], v[10:11], s[18:19], -v[26:27]
	v_fma_f64 v[58:59], v[10:11], s[4:5], -v[98:99]
	;; [unrolled: 1-line block ×3, first 2 shown]
	v_add_f64 v[52:53], v[92:93], v[64:65]
	v_add_f64 v[12:13], v[94:95], v[12:13]
	v_fma_f64 v[64:65], v[10:11], s[6:7], -v[100:101]
	v_fma_f64 v[92:93], v[10:11], s[14:15], -v[32:33]
	;; [unrolled: 1-line block ×3, first 2 shown]
	v_fma_f64 v[8:9], v[10:11], s[10:11], v[8:9]
	v_fma_f64 v[66:67], v[10:11], s[6:7], v[100:101]
	v_fma_f64 v[32:33], v[10:11], s[14:15], v[32:33]
	v_fma_f64 v[46:47], v[10:11], s[16:17], v[46:47]
	v_fma_f64 v[26:27], v[10:11], s[18:19], v[26:27]
	v_fma_f64 v[10:11], v[10:11], s[22:23], v[14:15]
	v_add_f64 v[4:5], v[36:37], v[4:5]
	v_add_f64 v[14:15], v[50:51], v[20:21]
	;; [unrolled: 1-line block ×16, first 2 shown]
	v_lshlrev_b32_e32 v16, 7, v115
	v_add3_u32 v16, v91, v16, v116
	ds_write2_b64 v16, v[6:7], v[4:5] offset1:1
	ds_write2_b64 v16, v[14:15], v[20:21] offset0:2 offset1:3
	ds_write2_b64 v16, v[24:25], v[30:31] offset0:4 offset1:5
	;; [unrolled: 1-line block ×7, first 2 shown]
	ds_write_b64 v16, v[10:11] offset:128
.LBB0_16:
	s_or_b32 exec_lo, exec_lo, s33
	v_add_nc_u16 v2, v115, 51
	v_add_nc_u16 v3, v115, 0x66
	v_and_b32_e32 v4, 0xff, v115
	s_waitcnt lgkmcnt(0)
	s_barrier
	v_and_b32_e32 v5, 0xff, v2
	v_and_b32_e32 v6, 0xff, v3
	v_mul_lo_u16 v4, 0xf1, v4
	buffer_gl0_inv
	v_mov_b32_e32 v56, 3
	v_mul_lo_u16 v5, 0xf1, v5
	v_mul_lo_u16 v6, 0xf1, v6
	v_lshrrev_b16 v50, 12, v4
	s_mov_b32 s0, 0xe8584caa
	s_mov_b32 s1, 0xbfebb67a
	v_lshrrev_b16 v51, 12, v5
	v_lshrrev_b16 v52, 12, v6
	v_mul_lo_u16 v4, v50, 17
	v_mov_b32_e32 v6, 5
	s_mov_b32 s5, 0x3febb67a
	v_mul_lo_u16 v5, v51, 17
	v_mul_lo_u16 v7, v52, 17
	v_sub_nc_u16 v53, v115, v4
	v_and_b32_e32 v58, 0xffff, v51
	v_and_b32_e32 v59, 0xffff, v52
	v_sub_nc_u16 v54, v2, v5
	v_sub_nc_u16 v55, v3, v7
	v_lshlrev_b32_sdwa v7, v6, v53 dst_sel:DWORD dst_unused:UNUSED_PAD src0_sel:DWORD src1_sel:BYTE_0
	v_lshlrev_b32_sdwa v60, v56, v53 dst_sel:DWORD dst_unused:UNUSED_PAD src0_sel:DWORD src1_sel:BYTE_0
	s_mov_b32 s4, s0
	v_lshlrev_b32_sdwa v14, v6, v54 dst_sel:DWORD dst_unused:UNUSED_PAD src0_sel:DWORD src1_sel:BYTE_0
	v_lshlrev_b32_sdwa v22, v6, v55 dst_sel:DWORD dst_unused:UNUSED_PAD src0_sel:DWORD src1_sel:BYTE_0
	v_mad_u32_u24 v58, 0x198, v58, 0
	s_clause 0x5
	global_load_dwordx4 v[2:5], v7, s[8:9]
	global_load_dwordx4 v[6:9], v7, s[8:9] offset:16
	global_load_dwordx4 v[10:13], v14, s[8:9]
	global_load_dwordx4 v[14:17], v14, s[8:9] offset:16
	global_load_dwordx4 v[18:21], v22, s[8:9]
	global_load_dwordx4 v[22:25], v22, s[8:9] offset:16
	ds_read2_b64 v[26:29], v89 offset0:153 offset1:204
	ds_read2_b64 v[30:33], v87 offset0:127 offset1:178
	;; [unrolled: 1-line block ×3, first 2 shown]
	v_mad_u32_u24 v59, 0x198, v59, 0
	s_waitcnt vmcnt(5) lgkmcnt(2)
	v_mul_f64 v[38:39], v[26:27], v[4:5]
	s_waitcnt vmcnt(4) lgkmcnt(1)
	v_mul_f64 v[40:41], v[32:33], v[8:9]
	s_waitcnt vmcnt(3)
	v_mul_f64 v[42:43], v[28:29], v[12:13]
	s_waitcnt vmcnt(2) lgkmcnt(0)
	v_mul_f64 v[44:45], v[34:35], v[16:17]
	s_waitcnt vmcnt(1)
	v_mul_f64 v[46:47], v[30:31], v[20:21]
	s_waitcnt vmcnt(0)
	v_mul_f64 v[48:49], v[36:37], v[24:25]
	v_mul_f64 v[4:5], v[72:73], v[4:5]
	;; [unrolled: 1-line block ×7, first 2 shown]
	v_fma_f64 v[38:39], v[72:73], v[2:3], v[38:39]
	v_fma_f64 v[40:41], v[78:79], v[6:7], v[40:41]
	;; [unrolled: 1-line block ×6, first 2 shown]
	v_fma_f64 v[26:27], v[26:27], v[2:3], -v[4:5]
	v_fma_f64 v[6:7], v[32:33], v[6:7], -v[8:9]
	;; [unrolled: 1-line block ×6, first 2 shown]
	v_and_b32_e32 v24, 0xffff, v50
	ds_read_b64 v[22:23], v88
	ds_read2_b64 v[2:5], v89 offset0:51 offset1:102
	s_waitcnt lgkmcnt(0)
	s_barrier
	v_mad_u32_u24 v57, 0x198, v24, 0
	buffer_gl0_inv
	v_add3_u32 v57, v57, v60, v116
	v_add_f64 v[16:17], v[38:39], v[40:41]
	v_add_f64 v[24:25], v[0:1], v[38:39]
	;; [unrolled: 1-line block ×7, first 2 shown]
	v_add_f64 v[30:31], v[26:27], -v[6:7]
	v_add_f64 v[32:33], v[8:9], v[10:11]
	v_add_f64 v[38:39], v[38:39], -v[40:41]
	v_add_f64 v[36:37], v[12:13], v[14:15]
	;; [unrolled: 2-line block ×4, first 2 shown]
	v_add_f64 v[46:47], v[46:47], -v[48:49]
	v_fma_f64 v[0:1], v[16:17], -0.5, v[0:1]
	v_add_f64 v[16:17], v[8:9], -v[10:11]
	v_fma_f64 v[18:19], v[18:19], -0.5, v[68:69]
	v_add_f64 v[8:9], v[2:3], v[8:9]
	v_fma_f64 v[20:21], v[20:21], -0.5, v[70:71]
	v_add_f64 v[24:25], v[24:25], v[40:41]
	v_fma_f64 v[22:23], v[28:29], -0.5, v[22:23]
	v_add_f64 v[28:29], v[34:35], v[44:45]
	v_fma_f64 v[2:3], v[32:33], -0.5, v[2:3]
	v_add_f64 v[32:33], v[50:51], v[48:49]
	v_fma_f64 v[4:5], v[36:37], -0.5, v[4:5]
	v_lshlrev_b32_sdwa v36, v56, v54 dst_sel:DWORD dst_unused:UNUSED_PAD src0_sel:DWORD src1_sel:BYTE_0
	v_lshlrev_b32_sdwa v37, v56, v55 dst_sel:DWORD dst_unused:UNUSED_PAD src0_sel:DWORD src1_sel:BYTE_0
	v_add_f64 v[26:27], v[26:27], v[6:7]
	v_add_f64 v[40:41], v[12:13], v[14:15]
	v_add3_u32 v50, v58, v36, v116
	v_add3_u32 v51, v59, v37, v116
	v_fma_f64 v[34:35], v[30:31], s[0:1], v[0:1]
	v_fma_f64 v[0:1], v[30:31], s[4:5], v[0:1]
	;; [unrolled: 1-line block ×6, first 2 shown]
	v_add_f64 v[36:37], v[8:9], v[10:11]
	v_fma_f64 v[44:45], v[38:39], s[4:5], v[22:23]
	v_fma_f64 v[22:23], v[38:39], s[0:1], v[22:23]
	;; [unrolled: 1-line block ×6, first 2 shown]
	ds_write2_b64 v57, v[24:25], v[34:35] offset1:17
	ds_write_b64 v57, v[0:1] offset:272
	ds_write2_b64 v50, v[28:29], v[30:31] offset1:17
	ds_write_b64 v50, v[16:17] offset:272
	;; [unrolled: 2-line block ×3, first 2 shown]
	s_waitcnt lgkmcnt(0)
	s_barrier
	buffer_gl0_inv
	ds_read_b64 v[16:17], v88
	ds_read2_b64 v[8:11], v89 offset0:51 offset1:102
	ds_read2_b64 v[0:3], v89 offset0:153 offset1:204
	;; [unrolled: 1-line block ×4, first 2 shown]
	s_waitcnt lgkmcnt(0)
	s_barrier
	buffer_gl0_inv
	ds_write2_b64 v57, v[26:27], v[44:45] offset1:17
	ds_write_b64 v57, v[22:23] offset:272
	ds_write2_b64 v50, v[36:37], v[38:39] offset1:17
	ds_write_b64 v50, v[42:43] offset:272
	;; [unrolled: 2-line block ×3, first 2 shown]
	s_waitcnt lgkmcnt(0)
	s_barrier
	buffer_gl0_inv
	s_and_saveexec_b32 s0, vcc_lo
	s_cbranch_execz .LBB0_18
; %bb.17:
	v_mov_b32_e32 v87, 0
	v_add_nc_u32_e32 v58, 0x400, v89
	v_add_nc_u32_e32 v62, 0x800, v89
	v_mad_u64_u32 v[68:69], null, s2, v114, 0
	v_lshlrev_b64 v[18:19], 4, v[86:87]
	v_add_nc_u32_e32 v100, 51, v114
	v_add_nc_u32_e32 v101, 0x66, v114
	;; [unrolled: 1-line block ×5, first 2 shown]
	v_add_co_u32 v46, vcc_lo, s8, v18
	v_add_co_ci_u32_e32 v47, vcc_lo, s9, v19, vcc_lo
	v_mad_u64_u32 v[72:73], null, s2, v100, 0
	s_mov_b32 s8, 0x8c811c17
	s_clause 0x7
	global_load_dwordx4 v[18:21], v[46:47], off offset:592
	global_load_dwordx4 v[22:25], v[46:47], off offset:608
	;; [unrolled: 1-line block ×8, first 2 shown]
	ds_read2_b64 v[50:53], v89 offset0:153 offset1:204
	ds_read2_b64 v[54:57], v89 offset0:51 offset1:102
	ds_read_b64 v[66:67], v88
	ds_read2_b64 v[58:61], v58 offset0:127 offset1:178
	ds_read2_b64 v[62:65], v62 offset0:101 offset1:152
	s_mov_b32 s9, 0x3fef838b
	v_add_nc_u32_e32 v109, 0x165, v114
	v_mad_u64_u32 v[74:75], null, s2, v101, 0
	v_mad_u64_u32 v[76:77], null, s2, v102, 0
	v_lshlrev_b64 v[70:71], 4, v[84:85]
	v_mad_u64_u32 v[82:83], null, s2, v103, 0
	v_mad_u64_u32 v[84:85], null, s2, v104, 0
	v_add_nc_u32_e32 v110, 0x198, v114
	v_mad_u64_u32 v[88:89], null, s2, v109, 0
	s_mov_b32 s18, 0xa2cf5039
	s_mov_b32 s19, 0x3fe8836f
	v_mad_u64_u32 v[98:99], null, s2, v110, 0
	v_add_co_u32 v112, vcc_lo, s12, v70
	s_mov_b32 s15, 0xbfe491b7
	s_mov_b32 s14, 0x523c161c
	v_add_co_ci_u32_e32 v113, vcc_lo, s13, v71, vcc_lo
	v_add_nc_u32_e32 v107, 0x132, v114
	s_mov_b32 s16, 0x7e0b738b
	s_mov_b32 s17, 0x3fc63a1a
	;; [unrolled: 1-line block ×4, first 2 shown]
	v_mad_u64_u32 v[86:87], null, s2, v107, 0
	s_mov_b32 s0, s4
	s_mov_b32 s10, 0x42522d1b
	;; [unrolled: 1-line block ×4, first 2 shown]
	s_waitcnt vmcnt(7)
	v_mul_f64 v[78:79], v[2:3], v[18:19]
	s_waitcnt vmcnt(6)
	v_mul_f64 v[80:81], v[4:5], v[22:23]
	v_mul_f64 v[2:3], v[2:3], v[20:21]
	v_mul_f64 v[4:5], v[4:5], v[24:25]
	s_waitcnt vmcnt(5)
	v_mul_f64 v[90:91], v[10:11], v[26:27]
	s_waitcnt vmcnt(4)
	v_mul_f64 v[92:93], v[12:13], v[30:31]
	v_mul_f64 v[10:11], v[10:11], v[28:29]
	v_mul_f64 v[12:13], v[12:13], v[32:33]
	;; [unrolled: 6-line block ×3, first 2 shown]
	s_waitcnt lgkmcnt(4)
	v_fma_f64 v[20:21], v[52:53], v[20:21], v[78:79]
	s_waitcnt lgkmcnt(1)
	v_fma_f64 v[24:25], v[58:59], v[24:25], v[80:81]
	v_fma_f64 v[2:3], v[52:53], v[18:19], -v[2:3]
	v_fma_f64 v[4:5], v[58:59], v[22:23], -v[4:5]
	s_waitcnt vmcnt(1)
	v_mul_f64 v[22:23], v[0:1], v[42:43]
	s_waitcnt vmcnt(0)
	v_mul_f64 v[52:53], v[6:7], v[46:47]
	v_mul_f64 v[6:7], v[6:7], v[48:49]
	v_fma_f64 v[28:29], v[56:57], v[28:29], v[90:91]
	s_waitcnt lgkmcnt(0)
	v_fma_f64 v[32:33], v[62:63], v[32:33], v[92:93]
	v_fma_f64 v[10:11], v[56:57], v[26:27], -v[10:11]
	v_fma_f64 v[12:13], v[62:63], v[30:31], -v[12:13]
	v_mul_f64 v[0:1], v[0:1], v[44:45]
	v_fma_f64 v[8:9], v[54:55], v[34:35], -v[8:9]
	v_fma_f64 v[14:15], v[64:65], v[38:39], -v[14:15]
	v_fma_f64 v[36:37], v[54:55], v[36:37], v[94:95]
	v_fma_f64 v[26:27], v[64:65], v[40:41], v[96:97]
	v_mov_b32_e32 v18, v69
	v_mov_b32_e32 v30, v75
	;; [unrolled: 1-line block ×5, first 2 shown]
	v_mad_u64_u32 v[18:19], null, s3, v114, v[18:19]
	v_add_f64 v[34:35], v[20:21], -v[24:25]
	v_mov_b32_e32 v19, v73
	v_add_f64 v[38:39], v[2:3], -v[4:5]
	v_fma_f64 v[22:23], v[50:51], v[44:45], v[22:23]
	v_mov_b32_e32 v55, v89
	v_fma_f64 v[6:7], v[60:61], v[46:47], -v[6:7]
	v_mad_u64_u32 v[57:58], null, s3, v100, v[19:20]
	v_add_f64 v[46:47], v[28:29], v[32:33]
	v_add_f64 v[44:45], v[10:11], v[12:13]
	v_fma_f64 v[0:1], v[50:51], v[42:43], -v[0:1]
	v_fma_f64 v[42:43], v[60:61], v[48:49], v[52:53]
	v_add_f64 v[28:29], v[28:29], -v[32:33]
	v_add_f64 v[10:11], v[10:11], -v[12:13]
	v_add_f64 v[48:49], v[8:9], v[14:15]
	v_add_f64 v[50:51], v[36:37], v[26:27]
	;; [unrolled: 1-line block ×4, first 2 shown]
	v_add_f64 v[26:27], v[36:37], -v[26:27]
	v_add_f64 v[8:9], v[8:9], -v[14:15]
	v_mad_u64_u32 v[60:61], null, s3, v101, v[30:31]
	v_mul_f64 v[52:53], v[34:35], s[8:9]
	v_mul_f64 v[89:90], v[34:35], s[14:15]
	;; [unrolled: 1-line block ×4, first 2 shown]
	v_mov_b32_e32 v56, v99
	v_mov_b32_e32 v54, v87
	;; [unrolled: 1-line block ×4, first 2 shown]
	v_fma_f64 v[70:71], v[46:47], s[18:19], v[16:17]
	v_fma_f64 v[63:64], v[44:45], s[18:19], v[66:67]
	v_mad_u64_u32 v[107:108], null, s3, v107, v[54:55]
	v_mad_u64_u32 v[36:37], null, s3, v104, v[41:42]
	v_add_f64 v[61:62], v[22:23], v[42:43]
	v_add_f64 v[78:79], v[44:45], v[48:49]
	v_mad_u64_u32 v[14:15], null, s3, v102, v[31:32]
	v_mad_u64_u32 v[30:31], null, s3, v103, v[40:41]
	v_add_f64 v[40:41], v[0:1], v[6:7]
	v_add_f64 v[80:81], v[46:47], v[50:51]
	v_fma_f64 v[52:53], v[28:29], s[14:15], -v[52:53]
	v_fma_f64 v[91:92], v[32:33], s[18:19], v[66:67]
	v_fma_f64 v[58:59], v[10:11], s[14:15], -v[58:59]
	s_mov_b32 s15, 0x3fe491b7
	v_fma_f64 v[95:96], v[12:13], s[18:19], v[16:17]
	v_fma_f64 v[99:100], v[48:49], s[18:19], v[66:67]
	;; [unrolled: 1-line block ×3, first 2 shown]
	v_mul_f64 v[103:104], v[26:27], s[14:15]
	v_mul_f64 v[105:106], v[8:9], s[14:15]
	v_add_f64 v[22:23], v[22:23], -v[42:43]
	v_fma_f64 v[42:43], v[32:33], s[16:17], v[63:64]
	v_add_f64 v[0:1], v[0:1], -v[6:7]
	v_fma_f64 v[6:7], v[12:13], s[16:17], v[70:71]
	v_mad_u64_u32 v[18:19], null, s3, v109, v[55:56]
	v_mad_u64_u32 v[54:55], null, s3, v110, v[56:57]
	v_lshlrev_b64 v[55:56], 4, v[68:69]
	v_fma_f64 v[70:71], v[26:27], s[8:9], v[89:90]
	v_mov_b32_e32 v77, v14
	v_add_f64 v[63:64], v[40:41], v[78:79]
	v_add_f64 v[68:69], v[61:62], v[80:81]
	;; [unrolled: 1-line block ×3, first 2 shown]
	v_fma_f64 v[89:90], v[48:49], s[16:17], v[91:92]
	v_fma_f64 v[91:92], v[8:9], s[8:9], v[93:94]
	v_add_f64 v[108:109], v[38:39], v[8:9]
	v_fma_f64 v[93:94], v[50:51], s[16:17], v[95:96]
	v_fma_f64 v[95:96], v[44:45], s[16:17], v[99:100]
	;; [unrolled: 1-line block ×6, first 2 shown]
	v_fma_f64 v[42:43], v[40:41], -0.5, v[42:43]
	v_fma_f64 v[57:58], v[0:1], s[4:5], v[58:59]
	v_fma_f64 v[6:7], v[61:62], -0.5, v[6:7]
	v_add_f64 v[105:106], v[40:41], v[66:67]
	v_add_f64 v[110:111], v[16:17], v[61:62]
	;; [unrolled: 1-line block ×4, first 2 shown]
	v_mov_b32_e32 v75, v60
	v_fma_f64 v[59:60], v[22:23], s[0:1], v[70:71]
	v_mov_b32_e32 v83, v30
	v_add_f64 v[2:3], v[2:3], v[63:64]
	v_add_f64 v[19:20], v[20:21], v[68:69]
	v_mov_b32_e32 v85, v36
	v_fma_f64 v[63:64], v[40:41], -0.5, v[89:90]
	v_fma_f64 v[68:69], v[0:1], s[0:1], v[91:92]
	v_add_f64 v[14:15], v[14:15], -v[28:29]
	v_fma_f64 v[70:71], v[61:62], -0.5, v[93:94]
	v_fma_f64 v[40:41], v[40:41], -0.5, v[95:96]
	;; [unrolled: 1-line block ×3, first 2 shown]
	v_fma_f64 v[21:22], v[22:23], s[4:5], v[101:102]
	v_fma_f64 v[0:1], v[0:1], s[4:5], v[103:104]
	;; [unrolled: 1-line block ×6, first 2 shown]
	v_add_f64 v[30:31], v[108:109], -v[10:11]
	v_mov_b32_e32 v89, v18
	v_fma_f64 v[36:37], v[78:79], -0.5, v[105:106]
	v_fma_f64 v[78:79], v[80:81], -0.5, v[110:111]
	v_lshlrev_b64 v[52:53], 4, v[74:75]
	v_fma_f64 v[28:29], v[28:29], s[6:7], v[59:60]
	v_add_co_u32 v55, vcc_lo, v112, v55
	v_add_f64 v[18:19], v[24:25], v[19:20]
	v_add_f64 v[50:51], v[4:5], v[2:3]
	v_fma_f64 v[23:24], v[44:45], s[10:11], v[63:64]
	v_fma_f64 v[44:45], v[10:11], s[6:7], v[68:69]
	v_mul_f64 v[68:69], v[14:15], s[4:5]
	v_fma_f64 v[46:47], v[46:47], s[10:11], v[70:71]
	v_fma_f64 v[32:33], v[32:33], s[10:11], v[40:41]
	;; [unrolled: 1-line block ×5, first 2 shown]
	v_lshlrev_b64 v[20:21], 4, v[72:73]
	v_add_f64 v[6:7], v[26:27], v[42:43]
	v_add_co_ci_u32_e32 v56, vcc_lo, v113, v56, vcc_lo
	v_add_f64 v[4:5], v[8:9], -v[48:49]
	v_mul_f64 v[70:71], v[30:31], s[4:5]
	v_fma_f64 v[2:3], v[14:15], s[4:5], v[36:37]
	v_fma_f64 v[0:1], v[30:31], s[0:1], v[78:79]
	v_lshlrev_b64 v[57:58], 4, v[76:77]
	v_lshlrev_b64 v[59:60], 4, v[82:83]
	v_mov_b32_e32 v87, v107
	v_lshlrev_b64 v[61:62], 4, v[84:85]
	v_add_f64 v[8:9], v[16:17], v[18:19]
	v_add_f64 v[10:11], v[66:67], v[50:51]
	;; [unrolled: 1-line block ×3, first 2 shown]
	v_lshlrev_b64 v[63:64], 4, v[86:87]
	v_mov_b32_e32 v99, v54
	v_add_f64 v[12:13], v[46:47], -v[44:45]
	v_add_f64 v[18:19], v[34:35], v[32:33]
	v_add_f64 v[16:17], v[40:41], -v[38:39]
	v_add_co_u32 v32, vcc_lo, v112, v20
	v_add_co_ci_u32_e32 v33, vcc_lo, v113, v21, vcc_lo
	v_add_co_u32 v36, vcc_lo, v112, v52
	v_fma_f64 v[26:27], v[26:27], -2.0, v[6:7]
	v_fma_f64 v[24:25], v[48:49], 2.0, v[4:5]
	v_fma_f64 v[22:23], v[68:69], -2.0, v[2:3]
	v_fma_f64 v[20:21], v[70:71], 2.0, v[0:1]
	v_add_co_ci_u32_e32 v37, vcc_lo, v113, v53, vcc_lo
	v_add_co_u32 v40, vcc_lo, v112, v57
	v_fma_f64 v[30:31], v[28:29], -2.0, v[14:15]
	global_store_dwordx4 v[55:56], v[8:11], off
	v_add_co_ci_u32_e32 v41, vcc_lo, v113, v58, vcc_lo
	v_fma_f64 v[28:29], v[44:45], 2.0, v[12:13]
	v_add_co_u32 v42, vcc_lo, v112, v59
	v_fma_f64 v[10:11], v[34:35], -2.0, v[18:19]
	v_fma_f64 v[8:9], v[38:39], 2.0, v[16:17]
	v_add_co_ci_u32_e32 v43, vcc_lo, v113, v60, vcc_lo
	global_store_dwordx4 v[32:33], v[16:19], off
	global_store_dwordx4 v[36:37], v[12:15], off
	;; [unrolled: 1-line block ×3, first 2 shown]
	v_add_co_u32 v0, vcc_lo, v112, v61
	v_lshlrev_b64 v[2:3], 4, v[88:89]
	v_add_co_ci_u32_e32 v1, vcc_lo, v113, v62, vcc_lo
	v_add_co_u32 v12, vcc_lo, v112, v63
	v_lshlrev_b64 v[14:15], 4, v[98:99]
	v_add_co_ci_u32_e32 v13, vcc_lo, v113, v64, vcc_lo
	v_add_co_u32 v2, vcc_lo, v112, v2
	v_add_co_ci_u32_e32 v3, vcc_lo, v113, v3, vcc_lo
	v_add_co_u32 v14, vcc_lo, v112, v14
	v_add_co_ci_u32_e32 v15, vcc_lo, v113, v15, vcc_lo
	global_store_dwordx4 v[42:43], v[4:7], off
	global_store_dwordx4 v[0:1], v[24:27], off
	;; [unrolled: 1-line block ×5, first 2 shown]
.LBB0_18:
	s_endpgm
	.section	.rodata,"a",@progbits
	.p2align	6, 0x0
	.amdhsa_kernel fft_rtc_back_len459_factors_17_3_9_wgs_255_tpt_51_halfLds_dp_ip_CI_sbrr_dirReg
		.amdhsa_group_segment_fixed_size 0
		.amdhsa_private_segment_fixed_size 0
		.amdhsa_kernarg_size 88
		.amdhsa_user_sgpr_count 6
		.amdhsa_user_sgpr_private_segment_buffer 1
		.amdhsa_user_sgpr_dispatch_ptr 0
		.amdhsa_user_sgpr_queue_ptr 0
		.amdhsa_user_sgpr_kernarg_segment_ptr 1
		.amdhsa_user_sgpr_dispatch_id 0
		.amdhsa_user_sgpr_flat_scratch_init 0
		.amdhsa_user_sgpr_private_segment_size 0
		.amdhsa_wavefront_size32 1
		.amdhsa_uses_dynamic_stack 0
		.amdhsa_system_sgpr_private_segment_wavefront_offset 0
		.amdhsa_system_sgpr_workgroup_id_x 1
		.amdhsa_system_sgpr_workgroup_id_y 0
		.amdhsa_system_sgpr_workgroup_id_z 0
		.amdhsa_system_sgpr_workgroup_info 0
		.amdhsa_system_vgpr_workitem_id 0
		.amdhsa_next_free_vgpr 239
		.amdhsa_next_free_sgpr 58
		.amdhsa_reserve_vcc 1
		.amdhsa_reserve_flat_scratch 0
		.amdhsa_float_round_mode_32 0
		.amdhsa_float_round_mode_16_64 0
		.amdhsa_float_denorm_mode_32 3
		.amdhsa_float_denorm_mode_16_64 3
		.amdhsa_dx10_clamp 1
		.amdhsa_ieee_mode 1
		.amdhsa_fp16_overflow 0
		.amdhsa_workgroup_processor_mode 1
		.amdhsa_memory_ordered 1
		.amdhsa_forward_progress 0
		.amdhsa_shared_vgpr_count 0
		.amdhsa_exception_fp_ieee_invalid_op 0
		.amdhsa_exception_fp_denorm_src 0
		.amdhsa_exception_fp_ieee_div_zero 0
		.amdhsa_exception_fp_ieee_overflow 0
		.amdhsa_exception_fp_ieee_underflow 0
		.amdhsa_exception_fp_ieee_inexact 0
		.amdhsa_exception_int_div_zero 0
	.end_amdhsa_kernel
	.text
.Lfunc_end0:
	.size	fft_rtc_back_len459_factors_17_3_9_wgs_255_tpt_51_halfLds_dp_ip_CI_sbrr_dirReg, .Lfunc_end0-fft_rtc_back_len459_factors_17_3_9_wgs_255_tpt_51_halfLds_dp_ip_CI_sbrr_dirReg
                                        ; -- End function
	.section	.AMDGPU.csdata,"",@progbits
; Kernel info:
; codeLenInByte = 12088
; NumSgprs: 60
; NumVgprs: 239
; ScratchSize: 0
; MemoryBound: 1
; FloatMode: 240
; IeeeMode: 1
; LDSByteSize: 0 bytes/workgroup (compile time only)
; SGPRBlocks: 7
; VGPRBlocks: 29
; NumSGPRsForWavesPerEU: 60
; NumVGPRsForWavesPerEU: 239
; Occupancy: 4
; WaveLimiterHint : 1
; COMPUTE_PGM_RSRC2:SCRATCH_EN: 0
; COMPUTE_PGM_RSRC2:USER_SGPR: 6
; COMPUTE_PGM_RSRC2:TRAP_HANDLER: 0
; COMPUTE_PGM_RSRC2:TGID_X_EN: 1
; COMPUTE_PGM_RSRC2:TGID_Y_EN: 0
; COMPUTE_PGM_RSRC2:TGID_Z_EN: 0
; COMPUTE_PGM_RSRC2:TIDIG_COMP_CNT: 0
	.text
	.p2alignl 6, 3214868480
	.fill 48, 4, 3214868480
	.type	__hip_cuid_ada62571c24adfe6,@object ; @__hip_cuid_ada62571c24adfe6
	.section	.bss,"aw",@nobits
	.globl	__hip_cuid_ada62571c24adfe6
__hip_cuid_ada62571c24adfe6:
	.byte	0                               ; 0x0
	.size	__hip_cuid_ada62571c24adfe6, 1

	.ident	"AMD clang version 19.0.0git (https://github.com/RadeonOpenCompute/llvm-project roc-6.4.0 25133 c7fe45cf4b819c5991fe208aaa96edf142730f1d)"
	.section	".note.GNU-stack","",@progbits
	.addrsig
	.addrsig_sym __hip_cuid_ada62571c24adfe6
	.amdgpu_metadata
---
amdhsa.kernels:
  - .args:
      - .actual_access:  read_only
        .address_space:  global
        .offset:         0
        .size:           8
        .value_kind:     global_buffer
      - .offset:         8
        .size:           8
        .value_kind:     by_value
      - .actual_access:  read_only
        .address_space:  global
        .offset:         16
        .size:           8
        .value_kind:     global_buffer
      - .actual_access:  read_only
        .address_space:  global
        .offset:         24
        .size:           8
        .value_kind:     global_buffer
      - .offset:         32
        .size:           8
        .value_kind:     by_value
      - .actual_access:  read_only
        .address_space:  global
        .offset:         40
        .size:           8
        .value_kind:     global_buffer
      - .actual_access:  read_only
        .address_space:  global
        .offset:         48
        .size:           8
        .value_kind:     global_buffer
      - .offset:         56
        .size:           4
        .value_kind:     by_value
      - .actual_access:  read_only
        .address_space:  global
        .offset:         64
        .size:           8
        .value_kind:     global_buffer
      - .actual_access:  read_only
        .address_space:  global
        .offset:         72
        .size:           8
        .value_kind:     global_buffer
      - .address_space:  global
        .offset:         80
        .size:           8
        .value_kind:     global_buffer
    .group_segment_fixed_size: 0
    .kernarg_segment_align: 8
    .kernarg_segment_size: 88
    .language:       OpenCL C
    .language_version:
      - 2
      - 0
    .max_flat_workgroup_size: 255
    .name:           fft_rtc_back_len459_factors_17_3_9_wgs_255_tpt_51_halfLds_dp_ip_CI_sbrr_dirReg
    .private_segment_fixed_size: 0
    .sgpr_count:     60
    .sgpr_spill_count: 0
    .symbol:         fft_rtc_back_len459_factors_17_3_9_wgs_255_tpt_51_halfLds_dp_ip_CI_sbrr_dirReg.kd
    .uniform_work_group_size: 1
    .uses_dynamic_stack: false
    .vgpr_count:     239
    .vgpr_spill_count: 0
    .wavefront_size: 32
    .workgroup_processor_mode: 1
amdhsa.target:   amdgcn-amd-amdhsa--gfx1030
amdhsa.version:
  - 1
  - 2
...

	.end_amdgpu_metadata
